;; amdgpu-corpus repo=ROCm/rocFFT kind=compiled arch=gfx950 opt=O3
	.text
	.amdgcn_target "amdgcn-amd-amdhsa--gfx950"
	.amdhsa_code_object_version 6
	.protected	fft_rtc_fwd_len330_factors_11_10_3_wgs_99_tpt_33_half_op_CI_CI_unitstride_sbrr_R2C_dirReg ; -- Begin function fft_rtc_fwd_len330_factors_11_10_3_wgs_99_tpt_33_half_op_CI_CI_unitstride_sbrr_R2C_dirReg
	.globl	fft_rtc_fwd_len330_factors_11_10_3_wgs_99_tpt_33_half_op_CI_CI_unitstride_sbrr_R2C_dirReg
	.p2align	8
	.type	fft_rtc_fwd_len330_factors_11_10_3_wgs_99_tpt_33_half_op_CI_CI_unitstride_sbrr_R2C_dirReg,@function
fft_rtc_fwd_len330_factors_11_10_3_wgs_99_tpt_33_half_op_CI_CI_unitstride_sbrr_R2C_dirReg: ; @fft_rtc_fwd_len330_factors_11_10_3_wgs_99_tpt_33_half_op_CI_CI_unitstride_sbrr_R2C_dirReg
; %bb.0:
	s_load_dwordx4 s[4:7], s[0:1], 0x58
	s_load_dwordx4 s[8:11], s[0:1], 0x0
	;; [unrolled: 1-line block ×3, first 2 shown]
	v_mul_u32_u24_e32 v1, 0x7c2, v0
	v_lshrrev_b32_e32 v2, 16, v1
	v_mad_u64_u32 v[6:7], s[2:3], s2, 3, v[2:3]
	v_mov_b32_e32 v10, 0
	v_mov_b32_e32 v7, v10
	s_waitcnt lgkmcnt(0)
	v_cmp_lt_u64_e64 s[2:3], s[10:11], 2
	v_mov_b64_e32 v[8:9], 0
	s_and_b64 vcc, exec, s[2:3]
	v_mov_b64_e32 v[2:3], v[8:9]
	v_mov_b64_e32 v[4:5], v[6:7]
	s_cbranch_vccnz .LBB0_8
; %bb.1:
	s_load_dwordx2 s[2:3], s[0:1], 0x10
	s_add_u32 s16, s14, 8
	s_addc_u32 s17, s15, 0
	s_add_u32 s18, s12, 8
	s_addc_u32 s19, s13, 0
	s_waitcnt lgkmcnt(0)
	s_add_u32 s20, s2, 8
	v_mov_b64_e32 v[8:9], 0
	s_addc_u32 s21, s3, 0
	s_mov_b64 s[22:23], 1
	v_mov_b64_e32 v[2:3], v[8:9]
	v_mov_b64_e32 v[12:13], v[6:7]
.LBB0_2:                                ; =>This Inner Loop Header: Depth=1
	s_load_dwordx2 s[24:25], s[20:21], 0x0
                                        ; implicit-def: $vgpr4_vgpr5
	s_waitcnt lgkmcnt(0)
	v_or_b32_e32 v11, s25, v13
	v_cmp_ne_u64_e32 vcc, 0, v[10:11]
	s_and_saveexec_b64 s[2:3], vcc
	s_xor_b64 s[26:27], exec, s[2:3]
	s_cbranch_execz .LBB0_4
; %bb.3:                                ;   in Loop: Header=BB0_2 Depth=1
	v_cvt_f32_u32_e32 v1, s24
	v_cvt_f32_u32_e32 v4, s25
	s_sub_u32 s2, 0, s24
	s_subb_u32 s3, 0, s25
	v_fmac_f32_e32 v1, 0x4f800000, v4
	v_rcp_f32_e32 v1, v1
	s_nop 0
	v_mul_f32_e32 v1, 0x5f7ffffc, v1
	v_mul_f32_e32 v4, 0x2f800000, v1
	v_trunc_f32_e32 v4, v4
	v_fmac_f32_e32 v1, 0xcf800000, v4
	v_cvt_u32_f32_e32 v7, v4
	v_cvt_u32_f32_e32 v1, v1
	v_mul_lo_u32 v4, s2, v7
	v_mul_hi_u32 v11, s2, v1
	v_mul_lo_u32 v5, s3, v1
	v_add_u32_e32 v11, v11, v4
	v_mul_lo_u32 v16, s2, v1
	v_add_u32_e32 v11, v11, v5
	v_mul_hi_u32 v4, v1, v16
	v_mul_hi_u32 v15, v1, v11
	v_mul_lo_u32 v14, v1, v11
	v_mov_b32_e32 v5, v10
	v_lshl_add_u64 v[4:5], v[4:5], 0, v[14:15]
	v_mul_hi_u32 v15, v7, v16
	v_mul_lo_u32 v16, v7, v16
	v_add_co_u32_e32 v4, vcc, v4, v16
	v_mul_hi_u32 v14, v7, v11
	s_nop 0
	v_addc_co_u32_e32 v4, vcc, v5, v15, vcc
	v_mov_b32_e32 v5, v10
	s_nop 0
	v_addc_co_u32_e32 v15, vcc, 0, v14, vcc
	v_mul_lo_u32 v14, v7, v11
	v_lshl_add_u64 v[4:5], v[4:5], 0, v[14:15]
	v_add_co_u32_e32 v1, vcc, v1, v4
	v_mul_lo_u32 v14, s2, v1
	s_nop 0
	v_addc_co_u32_e32 v7, vcc, v7, v5, vcc
	v_mul_lo_u32 v4, s2, v7
	v_mul_hi_u32 v5, s2, v1
	v_add_u32_e32 v4, v5, v4
	v_mul_lo_u32 v5, s3, v1
	v_add_u32_e32 v11, v4, v5
	v_mul_hi_u32 v17, v7, v14
	v_mul_lo_u32 v18, v7, v14
	v_mul_hi_u32 v5, v1, v11
	v_mul_lo_u32 v4, v1, v11
	v_mul_hi_u32 v14, v1, v14
	v_mov_b32_e32 v15, v10
	v_lshl_add_u64 v[4:5], v[14:15], 0, v[4:5]
	v_add_co_u32_e32 v4, vcc, v4, v18
	v_mul_hi_u32 v16, v7, v11
	s_nop 0
	v_addc_co_u32_e32 v4, vcc, v5, v17, vcc
	v_mul_lo_u32 v14, v7, v11
	s_nop 0
	v_addc_co_u32_e32 v15, vcc, 0, v16, vcc
	v_mov_b32_e32 v5, v10
	v_lshl_add_u64 v[4:5], v[4:5], 0, v[14:15]
	v_add_co_u32_e32 v1, vcc, v1, v4
	v_mul_hi_u32 v14, v12, v1
	s_nop 0
	v_addc_co_u32_e32 v7, vcc, v7, v5, vcc
	v_mad_u64_u32 v[4:5], s[2:3], v12, v7, 0
	v_mov_b32_e32 v15, v10
	v_lshl_add_u64 v[4:5], v[14:15], 0, v[4:5]
	v_mad_u64_u32 v[16:17], s[2:3], v13, v1, 0
	v_add_co_u32_e32 v1, vcc, v4, v16
	v_mad_u64_u32 v[14:15], s[2:3], v13, v7, 0
	s_nop 0
	v_addc_co_u32_e32 v4, vcc, v5, v17, vcc
	v_mov_b32_e32 v5, v10
	s_nop 0
	v_addc_co_u32_e32 v15, vcc, 0, v15, vcc
	v_lshl_add_u64 v[4:5], v[4:5], 0, v[14:15]
	v_mul_lo_u32 v1, s25, v4
	v_mul_lo_u32 v7, s24, v5
	v_mad_u64_u32 v[14:15], s[2:3], s24, v4, 0
	v_add3_u32 v1, v15, v7, v1
	v_sub_u32_e32 v7, v13, v1
	v_mov_b32_e32 v11, s25
	v_sub_co_u32_e32 v18, vcc, v12, v14
	v_lshl_add_u64 v[16:17], v[4:5], 0, 1
	s_nop 0
	v_subb_co_u32_e64 v7, s[2:3], v7, v11, vcc
	v_subrev_co_u32_e64 v11, s[2:3], s24, v18
	v_subb_co_u32_e32 v1, vcc, v13, v1, vcc
	s_nop 0
	v_subbrev_co_u32_e64 v7, s[2:3], 0, v7, s[2:3]
	v_cmp_le_u32_e64 s[2:3], s25, v7
	v_cmp_le_u32_e32 vcc, s25, v1
	s_nop 0
	v_cndmask_b32_e64 v14, 0, -1, s[2:3]
	v_cmp_le_u32_e64 s[2:3], s24, v11
	s_nop 1
	v_cndmask_b32_e64 v11, 0, -1, s[2:3]
	v_cmp_eq_u32_e64 s[2:3], s25, v7
	s_nop 1
	v_cndmask_b32_e64 v7, v14, v11, s[2:3]
	v_lshl_add_u64 v[14:15], v[4:5], 0, 2
	v_cmp_ne_u32_e64 s[2:3], 0, v7
	v_cndmask_b32_e64 v11, 0, -1, vcc
	v_cmp_le_u32_e32 vcc, s24, v18
	v_cndmask_b32_e64 v7, v17, v15, s[2:3]
	s_nop 0
	v_cndmask_b32_e64 v15, 0, -1, vcc
	v_cmp_eq_u32_e32 vcc, s25, v1
	s_nop 1
	v_cndmask_b32_e32 v1, v11, v15, vcc
	v_cmp_ne_u32_e32 vcc, 0, v1
	v_cndmask_b32_e64 v1, v16, v14, s[2:3]
	s_nop 0
	v_cndmask_b32_e32 v5, v5, v7, vcc
	v_cndmask_b32_e32 v4, v4, v1, vcc
.LBB0_4:                                ;   in Loop: Header=BB0_2 Depth=1
	s_andn2_saveexec_b64 s[2:3], s[26:27]
	s_cbranch_execz .LBB0_6
; %bb.5:                                ;   in Loop: Header=BB0_2 Depth=1
	v_cvt_f32_u32_e32 v1, s24
	s_sub_i32 s26, 0, s24
	v_rcp_iflag_f32_e32 v1, v1
	s_nop 0
	v_mul_f32_e32 v1, 0x4f7ffffe, v1
	v_cvt_u32_f32_e32 v1, v1
	v_mul_lo_u32 v4, s26, v1
	v_mul_hi_u32 v4, v1, v4
	v_add_u32_e32 v1, v1, v4
	v_mul_hi_u32 v1, v12, v1
	v_mul_lo_u32 v4, v1, s24
	v_sub_u32_e32 v4, v12, v4
	v_add_u32_e32 v5, 1, v1
	v_subrev_u32_e32 v7, s24, v4
	v_cmp_le_u32_e32 vcc, s24, v4
	s_nop 1
	v_cndmask_b32_e32 v4, v4, v7, vcc
	v_cndmask_b32_e32 v1, v1, v5, vcc
	v_add_u32_e32 v5, 1, v1
	v_cmp_le_u32_e32 vcc, s24, v4
	s_nop 1
	v_cndmask_b32_e32 v4, v1, v5, vcc
	v_mov_b32_e32 v5, v10
.LBB0_6:                                ;   in Loop: Header=BB0_2 Depth=1
	s_or_b64 exec, exec, s[2:3]
	v_mad_u64_u32 v[14:15], s[2:3], v4, s24, 0
	s_load_dwordx2 s[2:3], s[18:19], 0x0
	s_add_u32 s22, s22, 1
	v_mul_lo_u32 v1, v5, s24
	v_mul_lo_u32 v7, v4, s25
	s_load_dwordx2 s[24:25], s[16:17], 0x0
	s_addc_u32 s23, s23, 0
	v_add3_u32 v1, v15, v7, v1
	v_sub_co_u32_e32 v7, vcc, v12, v14
	s_add_u32 s16, s16, 8
	s_nop 0
	v_subb_co_u32_e32 v1, vcc, v13, v1, vcc
	s_addc_u32 s17, s17, 0
	s_waitcnt lgkmcnt(0)
	v_mul_lo_u32 v11, s2, v1
	v_mul_lo_u32 v12, s3, v7
	v_mad_u64_u32 v[8:9], s[2:3], s2, v7, v[8:9]
	s_add_u32 s18, s18, 8
	v_add3_u32 v9, v12, v9, v11
	s_addc_u32 s19, s19, 0
	v_mov_b64_e32 v[12:13], s[10:11]
	v_mul_lo_u32 v1, s24, v1
	v_mul_lo_u32 v11, s25, v7
	v_mad_u64_u32 v[2:3], s[2:3], s24, v7, v[2:3]
	s_add_u32 s20, s20, 8
	v_cmp_ge_u64_e32 vcc, s[22:23], v[12:13]
	v_add3_u32 v3, v11, v3, v1
	s_addc_u32 s21, s21, 0
	s_cbranch_vccnz .LBB0_8
; %bb.7:                                ;   in Loop: Header=BB0_2 Depth=1
	v_mov_b64_e32 v[12:13], v[4:5]
	s_branch .LBB0_2
.LBB0_8:
	s_load_dwordx2 s[0:1], s[0:1], 0x28
	s_lshl_b64 s[10:11], s[10:11], 3
	s_add_u32 s2, s14, s10
	s_mov_b32 s14, 0xaaaaaaab
	v_mul_hi_u32 v1, v6, s14
	v_lshrrev_b32_e32 v1, 1, v1
	v_lshl_add_u32 v1, v1, 1, v1
	s_addc_u32 s3, s15, s11
	v_sub_u32_e32 v1, v6, v1
	s_waitcnt lgkmcnt(0)
	v_cmp_gt_u64_e32 vcc, s[0:1], v[4:5]
	v_cmp_le_u64_e64 s[0:1], s[0:1], v[4:5]
                                        ; implicit-def: $vgpr6
	s_and_saveexec_b64 s[14:15], s[0:1]
	s_xor_b64 s[0:1], exec, s[14:15]
; %bb.9:
	s_mov_b32 s14, 0x7c1f07d
	v_mul_hi_u32 v6, v0, s14
	v_mul_u32_u24_e32 v6, 33, v6
	v_sub_u32_e32 v6, v0, v6
                                        ; implicit-def: $vgpr0
                                        ; implicit-def: $vgpr8_vgpr9
; %bb.10:
	s_or_saveexec_b64 s[0:1], s[0:1]
	v_mul_u32_u24_e32 v21, 0x14b, v1
	v_lshlrev_b32_e32 v24, 2, v21
	s_xor_b64 exec, exec, s[0:1]
	s_cbranch_execz .LBB0_12
; %bb.11:
	s_add_u32 s10, s12, s10
	s_addc_u32 s11, s13, s11
	s_load_dwordx2 s[10:11], s[10:11], 0x0
	s_mov_b32 s12, 0x7c1f07d
	s_waitcnt lgkmcnt(0)
	v_mul_lo_u32 v1, s11, v4
	v_mul_lo_u32 v6, s10, v5
	v_mad_u64_u32 v[10:11], s[10:11], s10, v4, 0
	v_add3_u32 v11, v11, v6, v1
	v_mul_hi_u32 v1, v0, s12
	v_mul_u32_u24_e32 v1, 33, v1
	v_sub_u32_e32 v6, v0, v1
	v_lshl_add_u64 v[0:1], v[10:11], 2, s[4:5]
	v_lshl_add_u64 v[0:1], v[8:9], 2, v[0:1]
	v_lshlrev_b32_e32 v8, 2, v6
	v_mov_b32_e32 v9, 0
	v_lshl_add_u64 v[0:1], v[0:1], 0, v[8:9]
	global_load_dword v7, v[0:1], off
	global_load_dword v9, v[0:1], off offset:132
	global_load_dword v10, v[0:1], off offset:264
	;; [unrolled: 1-line block ×9, first 2 shown]
	v_add3_u32 v0, 0, v24, v8
	v_add_u32_e32 v1, 0x400, v0
	s_waitcnt vmcnt(8)
	ds_write2_b32 v0, v7, v9 offset1:33
	s_waitcnt vmcnt(6)
	ds_write2_b32 v0, v10, v11 offset0:66 offset1:99
	s_waitcnt vmcnt(4)
	ds_write2_b32 v0, v12, v13 offset0:132 offset1:165
	;; [unrolled: 2-line block ×4, first 2 shown]
.LBB0_12:
	s_or_b64 exec, exec, s[0:1]
	v_lshlrev_b32_e32 v7, 2, v6
	v_add_u32_e32 v23, 0, v7
	v_add_u32_e32 v20, v23, v24
	s_waitcnt lgkmcnt(0)
	s_barrier
	ds_read2_b32 v[14:15], v20 offset0:30 offset1:60
	v_add_u32_e32 v18, 0, v24
	v_add_u32_e32 v0, 0x400, v20
	;; [unrolled: 1-line block ×3, first 2 shown]
	ds_read2_b32 v[8:9], v0 offset0:14 offset1:44
	ds_read_b32 v0, v19
	ds_read2_b32 v[16:17], v20 offset0:90 offset1:120
	ds_read2_b32 v[12:13], v20 offset0:150 offset1:180
	;; [unrolled: 1-line block ×3, first 2 shown]
	s_waitcnt lgkmcnt(4)
	v_sub_f16_sdwa v41, v14, v9 dst_sel:DWORD dst_unused:UNUSED_PAD src0_sel:WORD_1 src1_sel:WORD_1
	v_add_f16_e32 v25, v9, v14
	v_sub_f16_e32 v46, v14, v9
	s_movk_i32 s10, 0x3abb
	v_mul_f16_e32 v35, 0xb853, v41
	v_sub_f16_sdwa v44, v15, v8 dst_sel:DWORD dst_unused:UNUSED_PAD src0_sel:WORD_1 src1_sel:WORD_1
	v_add_f16_sdwa v27, v9, v14 dst_sel:DWORD dst_unused:UNUSED_PAD src0_sel:WORD_1 src1_sel:WORD_1
	v_mul_f16_e32 v37, 0xb853, v46
	v_fma_f16 v1, v25, s10, v35
	v_add_f16_e32 v26, v8, v15
	v_sub_f16_e32 v49, v15, v8
	s_movk_i32 s11, 0x36a6
	v_mul_f16_e32 v36, 0xbb47, v44
	s_waitcnt lgkmcnt(3)
	v_add_f16_e32 v1, v0, v1
	v_fma_f16 v22, v27, s10, -v37
	v_add_f16_sdwa v29, v8, v15 dst_sel:DWORD dst_unused:UNUSED_PAD src0_sel:WORD_1 src1_sel:WORD_1
	v_mul_f16_e32 v40, 0xbb47, v49
	v_fma_f16 v28, v26, s11, v36
	v_add_f16_sdwa v22, v0, v22 dst_sel:DWORD dst_unused:UNUSED_PAD src0_sel:WORD_1 src1_sel:DWORD
	v_add_f16_e32 v1, v28, v1
	v_fma_f16 v28, v29, s11, -v40
	s_waitcnt lgkmcnt(0)
	v_sub_f16_sdwa v47, v16, v11 dst_sel:DWORD dst_unused:UNUSED_PAD src0_sel:WORD_1 src1_sel:WORD_1
	v_add_f16_e32 v22, v28, v22
	v_add_f16_e32 v28, v11, v16
	v_sub_f16_e32 v51, v16, v11
	s_mov_b32 s12, 0xb08e
	v_mul_f16_e32 v38, 0xbbeb, v47
	v_add_f16_sdwa v31, v11, v16 dst_sel:DWORD dst_unused:UNUSED_PAD src0_sel:WORD_1 src1_sel:WORD_1
	v_mul_f16_e32 v42, 0xbbeb, v51
	v_fma_f16 v30, v28, s12, v38
	v_add_f16_e32 v1, v30, v1
	v_fma_f16 v30, v31, s12, -v42
	v_sub_f16_sdwa v50, v17, v10 dst_sel:DWORD dst_unused:UNUSED_PAD src0_sel:WORD_1 src1_sel:WORD_1
	v_add_f16_e32 v22, v30, v22
	v_add_f16_e32 v30, v10, v17
	v_sub_f16_e32 v53, v17, v10
	s_mov_b32 s13, 0xb93d
	v_mul_f16_e32 v39, 0xba0c, v50
	v_add_f16_sdwa v33, v10, v17 dst_sel:DWORD dst_unused:UNUSED_PAD src0_sel:WORD_1 src1_sel:WORD_1
	v_mul_f16_e32 v45, 0xba0c, v53
	v_fma_f16 v32, v30, s13, v39
	v_add_f16_e32 v1, v32, v1
	v_fma_f16 v32, v33, s13, -v45
	;; [unrolled: 11-line block ×3, first 2 shown]
	v_add_f16_e32 v22, v55, v22
	v_cmp_gt_u32_e64 s[0:1], 30, v6
	s_barrier
	s_and_saveexec_b64 s[4:5], s[0:1]
	s_cbranch_execz .LBB0_14
; %bb.13:
	v_mul_f16_e32 v55, 0xb482, v46
	v_fma_f16 v56, v27, s14, v55
	v_mul_f16_e32 v57, 0x3853, v49
	v_add_f16_sdwa v56, v0, v56 dst_sel:DWORD dst_unused:UNUSED_PAD src0_sel:WORD_1 src1_sel:DWORD
	v_fma_f16 v58, v29, s10, v57
	v_add_f16_e32 v56, v58, v56
	v_mul_f16_e32 v58, 0xba0c, v51
	v_fma_f16 v59, v31, s13, v58
	v_add_f16_e32 v56, v59, v56
	v_mul_f16_e32 v59, 0x3b47, v53
	;; [unrolled: 3-line block ×4, first 2 shown]
	v_fma_f16 v62, v25, s14, -v61
	v_mul_f16_e32 v63, 0x3853, v44
	v_add_f16_e32 v62, v0, v62
	v_fma_f16 v64, v26, s10, -v63
	v_add_f16_e32 v62, v64, v62
	v_mul_f16_e32 v64, 0xba0c, v47
	v_fma_f16 v65, v28, s13, -v64
	v_add_f16_e32 v62, v65, v62
	v_add_f16_e32 v65, v0, v14
	v_add_f16_sdwa v14, v0, v14 dst_sel:DWORD dst_unused:UNUSED_PAD src0_sel:WORD_1 src1_sel:WORD_1
	v_add_f16_e32 v65, v65, v15
	v_add_f16_sdwa v14, v14, v15 dst_sel:DWORD dst_unused:UNUSED_PAD src0_sel:DWORD src1_sel:WORD_1
	v_add_f16_e32 v65, v65, v16
	v_add_f16_sdwa v14, v14, v16 dst_sel:DWORD dst_unused:UNUSED_PAD src0_sel:DWORD src1_sel:WORD_1
	;; [unrolled: 2-line block ×3, first 2 shown]
	v_mul_f16_e32 v15, 0x3b47, v50
	v_mul_f16_e32 v16, 0xba0c, v46
	v_add_f16_e32 v65, v65, v12
	v_add_f16_sdwa v12, v14, v12 dst_sel:DWORD dst_unused:UNUSED_PAD src0_sel:DWORD src1_sel:WORD_1
	v_fma_f16 v66, v30, s11, -v15
	v_fma_f16 v17, v27, s13, v16
	v_add_f16_e32 v65, v65, v13
	v_add_f16_sdwa v12, v12, v13 dst_sel:DWORD dst_unused:UNUSED_PAD src0_sel:DWORD src1_sel:WORD_1
	v_mul_f16_e32 v13, 0x3beb, v49
	v_add_f16_e32 v62, v66, v62
	v_mul_f16_e32 v66, 0xbbeb, v52
	v_add_f16_sdwa v17, v0, v17 dst_sel:DWORD dst_unused:UNUSED_PAD src0_sel:WORD_1 src1_sel:DWORD
	v_fma_f16 v14, v29, s12, v13
	v_fma_f16 v67, v32, s12, -v66
	v_add_f16_e32 v14, v14, v17
	v_mul_f16_e32 v17, 0xb853, v51
	v_add_f16_e32 v65, v65, v10
	v_add_f16_sdwa v10, v12, v10 dst_sel:DWORD dst_unused:UNUSED_PAD src0_sel:DWORD src1_sel:WORD_1
	v_add_f16_e32 v62, v67, v62
	v_fma_f16 v67, v31, s10, v17
	v_add_f16_e32 v65, v65, v11
	v_add_f16_sdwa v10, v10, v11 dst_sel:DWORD dst_unused:UNUSED_PAD src0_sel:DWORD src1_sel:WORD_1
	v_mul_f16_e32 v11, 0xb482, v53
	v_add_f16_e32 v14, v67, v14
	v_fma_f16 v12, v33, s14, v11
	v_add_f16_e32 v12, v12, v14
	v_mul_f16_e32 v14, 0x3b47, v54
	v_add_f16_e32 v65, v65, v8
	v_add_f16_sdwa v8, v10, v8 dst_sel:DWORD dst_unused:UNUSED_PAD src0_sel:DWORD src1_sel:WORD_1
	v_fma_f16 v67, v34, s11, v14
	v_add_f16_e32 v65, v65, v9
	v_add_f16_sdwa v8, v8, v9 dst_sel:DWORD dst_unused:UNUSED_PAD src0_sel:DWORD src1_sel:WORD_1
	v_mul_f16_e32 v9, 0xba0c, v41
	v_add_f16_e32 v12, v67, v12
	v_fma_f16 v10, v25, s13, -v9
	v_mul_f16_e32 v67, 0x3beb, v44
	v_add_f16_e32 v10, v0, v10
	v_fma_f16 v68, v26, s12, -v67
	v_add_f16_e32 v10, v68, v10
	v_mul_f16_e32 v68, 0xb853, v47
	v_fma_f16 v69, v28, s10, -v68
	v_add_f16_e32 v10, v69, v10
	v_mul_f16_e32 v69, 0xb482, v50
	;; [unrolled: 3-line block ×4, first 2 shown]
	v_fma_f16 v72, v27, s12, v71
	v_mul_f16_e32 v73, 0x3482, v49
	v_add_f16_sdwa v72, v0, v72 dst_sel:DWORD dst_unused:UNUSED_PAD src0_sel:WORD_1 src1_sel:DWORD
	v_fma_f16 v74, v29, s14, v73
	v_add_f16_e32 v72, v74, v72
	v_mul_f16_e32 v74, 0x3b47, v51
	v_fma_f16 v75, v31, s11, v74
	v_add_f16_e32 v72, v75, v72
	v_mul_f16_e32 v75, 0xb853, v53
	;; [unrolled: 3-line block ×4, first 2 shown]
	v_fma_f16 v78, v25, s12, -v77
	v_mul_f16_e32 v79, 0x3482, v44
	v_add_f16_e32 v78, v0, v78
	v_fma_f16 v80, v26, s14, -v79
	v_add_f16_e32 v78, v80, v78
	v_mul_f16_e32 v80, 0x3b47, v47
	v_fma_f16 v81, v28, s11, -v80
	v_add_f16_e32 v78, v81, v78
	v_mul_f16_e32 v81, 0xb853, v50
	;; [unrolled: 3-line block ×3, first 2 shown]
	v_fma_f16 v83, v32, s13, -v82
	v_mul_f16_e32 v46, 0xbb47, v46
	v_add_f16_e32 v78, v83, v78
	v_fma_f16 v83, v27, s11, v46
	v_mul_f16_e32 v49, 0xba0c, v49
	v_add_f16_sdwa v83, v0, v83 dst_sel:DWORD dst_unused:UNUSED_PAD src0_sel:WORD_1 src1_sel:DWORD
	v_fma_f16 v84, v29, s13, v49
	v_mul_f16_e32 v51, 0x3482, v51
	v_add_f16_e32 v83, v84, v83
	v_fma_f16 v84, v31, s14, v51
	v_mul_f16_e32 v53, 0x3beb, v53
	v_add_f16_e32 v83, v84, v83
	;; [unrolled: 3-line block ×4, first 2 shown]
	v_fma_f16 v84, v25, s11, -v41
	v_mul_f16_e32 v44, 0xba0c, v44
	v_add_f16_e32 v84, v0, v84
	v_fma_f16 v85, v26, s13, -v44
	v_mul_f16_e32 v47, 0x3482, v47
	v_add_f16_e32 v84, v85, v84
	;; [unrolled: 3-line block ×4, first 2 shown]
	v_fma_f16 v85, v32, s10, -v52
	v_fma_f16 v16, v27, s13, -v16
	v_add_f16_e32 v84, v85, v84
	v_mul_f16_e32 v85, 0x3abb, v27
	v_add_f16_sdwa v16, v0, v16 dst_sel:DWORD dst_unused:UNUSED_PAD src0_sel:WORD_1 src1_sel:DWORD
	v_fma_f16 v13, v29, s12, -v13
	v_add_f16_e32 v37, v37, v85
	v_mul_f16_e32 v85, 0x36a6, v29
	v_add_f16_e32 v13, v13, v16
	v_fma_f16 v16, v31, s10, -v17
	v_add_f16_e32 v40, v40, v85
	v_add_f16_sdwa v37, v0, v37 dst_sel:DWORD dst_unused:UNUSED_PAD src0_sel:WORD_1 src1_sel:DWORD
	v_add_f16_e32 v13, v16, v13
	v_fma_f16 v11, v33, s14, -v11
	v_add_f16_e32 v37, v40, v37
	v_mul_f16_e32 v40, 0xb08e, v31
	v_add_f16_e32 v11, v11, v13
	v_fma_f16 v13, v34, s11, -v14
	v_fma_f16 v9, v25, s13, v9
	v_add_f16_e32 v40, v42, v40
	v_add_f16_e32 v11, v13, v11
	;; [unrolled: 1-line block ×3, first 2 shown]
	v_fma_f16 v13, v26, s12, v67
	v_add_f16_e32 v37, v40, v37
	v_mul_f16_e32 v40, 0xb93d, v33
	v_add_f16_e32 v9, v13, v9
	v_fma_f16 v13, v28, s10, v68
	v_add_f16_e32 v40, v45, v40
	v_add_f16_e32 v9, v13, v9
	v_fma_f16 v13, v30, s14, v69
	v_add_f16_e32 v37, v40, v37
	v_mul_f16_e32 v40, 0xbbad, v34
	v_add_f16_e32 v9, v13, v9
	v_fma_f16 v13, v32, s11, v70
	v_add_f16_e32 v40, v48, v40
	v_add_f16_e32 v9, v13, v9
	v_fma_f16 v13, v27, s12, -v71
	v_add_f16_e32 v37, v40, v37
	v_mul_f16_e32 v40, 0x3abb, v25
	v_add_f16_sdwa v13, v0, v13 dst_sel:DWORD dst_unused:UNUSED_PAD src0_sel:WORD_1 src1_sel:DWORD
	v_fma_f16 v14, v29, s14, -v73
	v_sub_f16_e32 v35, v40, v35
	v_mul_f16_e32 v40, 0x36a6, v26
	v_add_f16_e32 v13, v14, v13
	v_fma_f16 v14, v31, s11, -v74
	v_sub_f16_e32 v36, v40, v36
	v_add_f16_e32 v35, v0, v35
	v_add_f16_e32 v13, v14, v13
	v_fma_f16 v14, v33, s10, -v75
	v_add_f16_e32 v35, v36, v35
	v_mul_f16_e32 v36, 0xb08e, v28
	v_add_f16_e32 v13, v14, v13
	v_fma_f16 v14, v34, s13, -v76
	v_sub_f16_e32 v36, v36, v38
	v_add_f16_e32 v13, v14, v13
	v_fma_f16 v14, v25, s12, v77
	v_add_f16_e32 v35, v36, v35
	v_mul_f16_e32 v36, 0xb93d, v30
	v_add_f16_e32 v14, v0, v14
	v_fma_f16 v16, v26, s14, v79
	v_sub_f16_e32 v36, v36, v39
	v_add_f16_e32 v14, v16, v14
	v_fma_f16 v16, v28, s11, v80
	v_add_f16_e32 v35, v36, v35
	v_mul_f16_e32 v36, 0xbbad, v32
	v_add_f16_e32 v14, v16, v14
	v_fma_f16 v16, v30, s10, v81
	v_sub_f16_e32 v36, v36, v43
	v_add_f16_e32 v14, v16, v14
	v_fma_f16 v16, v32, s13, v82
	v_add_f16_e32 v35, v36, v35
	v_fma_f16 v36, v27, s14, -v55
	v_add_f16_e32 v14, v16, v14
	v_fma_f16 v16, v27, s11, -v46
	v_add_f16_sdwa v36, v0, v36 dst_sel:DWORD dst_unused:UNUSED_PAD src0_sel:WORD_1 src1_sel:DWORD
	v_fma_f16 v38, v29, s10, -v57
	v_add_f16_sdwa v16, v0, v16 dst_sel:DWORD dst_unused:UNUSED_PAD src0_sel:WORD_1 src1_sel:DWORD
	v_fma_f16 v17, v29, s13, -v49
	v_add_f16_e32 v36, v38, v36
	v_fma_f16 v38, v31, s13, -v58
	v_add_f16_e32 v16, v17, v16
	;; [unrolled: 2-line block ×7, first 2 shown]
	v_fma_f16 v38, v25, s14, v61
	v_add_f16_e32 v16, v17, v16
	v_fma_f16 v17, v25, s11, v41
	v_add_f16_e32 v38, v0, v38
	v_add_f16_e32 v0, v0, v17
	v_fma_f16 v17, v26, s13, v44
	v_add_f16_e32 v0, v17, v0
	v_fma_f16 v17, v28, s14, v47
	;; [unrolled: 2-line block ×3, first 2 shown]
	v_fma_f16 v39, v26, s10, v63
	v_add_f16_e32 v0, v17, v0
	v_fma_f16 v17, v32, s10, v52
	v_add_f16_e32 v38, v39, v38
	;; [unrolled: 2-line block ×3, first 2 shown]
	v_mul_u32_u24_e32 v17, 40, v6
	v_add_f16_e32 v38, v39, v38
	v_fma_f16 v15, v30, s11, v15
	v_add3_u32 v17, v23, v17, v24
	v_pack_b32_f16 v25, v35, v37
	v_pack_b32_f16 v8, v65, v8
	v_add_f16_e32 v15, v15, v38
	v_fma_f16 v38, v32, s12, v66
	ds_write2_b32 v17, v8, v25 offset1:1
	v_pack_b32_f16 v8, v78, v72
	v_pack_b32_f16 v25, v84, v83
	v_add_f16_e32 v15, v38, v15
	ds_write2_b32 v17, v25, v8 offset0:2 offset1:3
	v_pack_b32_f16 v8, v62, v56
	v_pack_b32_f16 v10, v10, v12
	ds_write2_b32 v17, v10, v8 offset0:4 offset1:5
	v_pack_b32_f16 v8, v9, v11
	v_pack_b32_f16 v9, v15, v36
	;; [unrolled: 3-line block ×3, first 2 shown]
	s_mov_b32 s0, 0x5040100
	ds_write2_b32 v17, v8, v0 offset0:8 offset1:9
	v_perm_b32 v0, v22, v1, s0
	ds_write_b32 v17, v0 offset:40
.LBB0_14:
	s_or_b64 exec, exec, s[4:5]
	s_movk_i32 s0, 0x75
	v_mul_lo_u16_sdwa v0, v6, s0 dst_sel:DWORD dst_unused:UNUSED_PAD src0_sel:BYTE_0 src1_sel:DWORD
	v_sub_u16_sdwa v8, v6, v0 dst_sel:DWORD dst_unused:UNUSED_PAD src0_sel:DWORD src1_sel:BYTE_1
	v_lshrrev_b16_e32 v8, 1, v8
	v_and_b32_e32 v8, 0x7f, v8
	v_add_u16_sdwa v0, v8, v0 dst_sel:DWORD dst_unused:UNUSED_PAD src0_sel:DWORD src1_sel:BYTE_1
	v_lshrrev_b16_e32 v32, 3, v0
	v_mul_lo_u16_e32 v0, 11, v32
	v_sub_u16_e32 v33, v6, v0
	v_mov_b32_e32 v0, 9
	v_mul_u32_u24_sdwa v0, v33, v0 dst_sel:DWORD dst_unused:UNUSED_PAD src0_sel:BYTE_0 src1_sel:DWORD
	v_lshlrev_b32_e32 v0, 2, v0
	s_load_dwordx2 s[2:3], s[2:3], 0x0
	s_waitcnt lgkmcnt(0)
	s_barrier
	global_load_dwordx4 v[8:11], v0, s[8:9]
	global_load_dwordx4 v[12:15], v0, s[8:9] offset:16
	global_load_dword v25, v0, s[8:9] offset:32
	ds_read2_b32 v[16:17], v20 offset0:33 offset1:66
	ds_read2_b32 v[26:27], v20 offset0:99 offset1:132
	;; [unrolled: 1-line block ×3, first 2 shown]
	v_add_u32_e32 v34, 0x200, v20
	ds_read_b32 v0, v19
	ds_read_b32 v35, v20 offset:1188
	ds_read2_b32 v[30:31], v34 offset0:103 offset1:136
	s_mov_b32 s0, 0x5040100
	s_mov_b32 s1, 0x7060302
	s_waitcnt lgkmcnt(3)
	v_lshrrev_b32_e32 v37, 16, v29
	v_perm_b32 v39, v27, v17, s0
	v_lshrrev_b32_e32 v41, 16, v26
	v_perm_b32 v43, v28, v26, s1
	v_perm_b32 v44, v28, v26, s0
	s_waitcnt lgkmcnt(0)
	v_lshrrev_b32_e32 v46, 16, v31
	v_lshrrev_b32_e32 v38, 16, v35
	v_perm_b32 v40, v27, v17, s1
	v_lshrrev_b32_e32 v42, 16, v28
	s_movk_i32 s4, 0x3b9c
	s_mov_b32 s11, 0xbb9c
	s_movk_i32 s5, 0x38b4
	s_mov_b32 s12, 0xb8b4
	s_movk_i32 s10, 0x34f2
	v_lshrrev_b32_e32 v45, 16, v30
	v_lshrrev_b32_e32 v36, 16, v0
	s_barrier
	s_waitcnt vmcnt(2)
	v_pk_mul_f16 v47, v8, v16
	v_mul_f16_sdwa v48, v8, v16 dst_sel:DWORD dst_unused:UNUSED_PAD src0_sel:DWORD src1_sel:WORD_1
	v_lshrrev_b32_e32 v8, 16, v8
	v_mul_f16_sdwa v50, v11, v27 dst_sel:DWORD dst_unused:UNUSED_PAD src0_sel:WORD_1 src1_sel:WORD_1
	v_perm_b32 v52, v11, v9, s1
	v_mul_f16_sdwa v26, v10, v26 dst_sel:DWORD dst_unused:UNUSED_PAD src0_sel:WORD_1 src1_sel:DWORD
	s_waitcnt vmcnt(1)
	v_mul_f16_sdwa v55, v37, v13 dst_sel:DWORD dst_unused:UNUSED_PAD src0_sel:DWORD src1_sel:WORD_1
	v_mul_f16_sdwa v49, v9, v17 dst_sel:DWORD dst_unused:UNUSED_PAD src0_sel:WORD_1 src1_sel:WORD_1
	v_perm_b32 v51, v11, v9, s0
	v_perm_b32 v53, v12, v10, s0
	;; [unrolled: 1-line block ×3, first 2 shown]
	v_mul_f16_sdwa v28, v12, v28 dst_sel:DWORD dst_unused:UNUSED_PAD src0_sel:WORD_1 src1_sel:DWORD
	v_mul_f16_sdwa v59, v46, v15 dst_sel:DWORD dst_unused:UNUSED_PAD src0_sel:DWORD src1_sel:WORD_1
	v_mul_f16_sdwa v60, v31, v15 dst_sel:DWORD dst_unused:UNUSED_PAD src0_sel:DWORD src1_sel:WORD_1
	v_fma_f16 v8, v8, v16, v48
	v_fma_f16 v11, v11, v27, -v50
	v_pk_mul_f16 v16, v52, v39
	v_fma_f16 v10, v10, v41, v26
	v_fma_f16 v26, v29, v13, -v55
	v_mul_f16_sdwa v56, v29, v13 dst_sel:DWORD dst_unused:UNUSED_PAD src0_sel:DWORD src1_sel:WORD_1
	s_waitcnt vmcnt(0)
	v_mul_f16_sdwa v61, v38, v25 dst_sel:DWORD dst_unused:UNUSED_PAD src0_sel:DWORD src1_sel:WORD_1
	v_mul_f16_sdwa v62, v35, v25 dst_sel:DWORD dst_unused:UNUSED_PAD src0_sel:DWORD src1_sel:WORD_1
	v_fma_f16 v9, v9, v17, -v49
	v_fma_f16 v12, v12, v42, v28
	v_fma_f16 v28, v31, v15, -v59
	v_fma_f16 v15, v46, v15, v60
	v_pk_fma_f16 v16, v51, v40, v16
	v_add_f16_e32 v31, v11, v26
	v_fma_f16 v13, v37, v13, v56
	v_fma_f16 v29, v35, v25, -v61
	v_fma_f16 v25, v38, v25, v62
	v_sub_f16_e32 v35, v9, v11
	v_sub_f16_e32 v37, v28, v26
	v_fma_f16 v31, v31, -0.5, v0
	v_sub_f16_e32 v38, v16, v15
	v_sub_f16_sdwa v39, v16, v13 dst_sel:DWORD dst_unused:UNUSED_PAD src0_sel:WORD_1 src1_sel:DWORD
	v_add_f16_e32 v35, v35, v37
	v_fma_f16 v37, v38, s4, v31
	v_fma_f16 v31, v38, s11, v31
	;; [unrolled: 1-line block ×4, first 2 shown]
	v_mul_f16_sdwa v57, v45, v14 dst_sel:DWORD dst_unused:UNUSED_PAD src0_sel:DWORD src1_sel:WORD_1
	v_fma_f16 v37, v35, s10, v37
	v_fma_f16 v31, v35, s10, v31
	v_add_f16_e32 v35, v9, v28
	v_mul_f16_sdwa v58, v30, v14 dst_sel:DWORD dst_unused:UNUSED_PAD src0_sel:DWORD src1_sel:WORD_1
	v_fma_f16 v27, v30, v14, -v57
	v_add_f16_e32 v30, v0, v9
	v_fma_f16 v0, v35, -0.5, v0
	v_add_f16_e32 v30, v30, v11
	v_fma_f16 v35, v39, s11, v0
	v_fma_f16 v0, v39, s4, v0
	v_add_f16_sdwa v39, v16, v13 dst_sel:DWORD dst_unused:UNUSED_PAD src0_sel:WORD_1 src1_sel:DWORD
	v_add_f16_e32 v30, v30, v26
	v_sub_f16_e32 v40, v11, v9
	v_sub_f16_e32 v41, v26, v28
	v_fma_f16 v39, v39, -0.5, v36
	v_sub_f16_e32 v9, v9, v28
	v_add_f16_e32 v30, v30, v28
	v_fma_f16 v35, v38, s5, v35
	v_add_f16_e32 v40, v40, v41
	v_fma_f16 v0, v38, s12, v0
	v_fma_f16 v28, v9, s11, v39
	v_sub_f16_e32 v11, v11, v26
	v_fma_f16 v35, v40, s10, v35
	v_fma_f16 v0, v40, s10, v0
	;; [unrolled: 1-line block ×3, first 2 shown]
	v_sub_f16_sdwa v28, v16, v16 dst_sel:DWORD dst_unused:UNUSED_PAD src0_sel:DWORD src1_sel:WORD_1
	v_sub_f16_e32 v40, v15, v13
	v_fma_f16 v39, v9, s4, v39
	v_add_f16_e32 v28, v28, v40
	v_fma_f16 v39, v11, s5, v39
	v_add_f16_e32 v38, v36, v16
	v_fma_f16 v26, v28, s10, v26
	v_fma_f16 v28, v28, s10, v39
	v_add_f16_e32 v39, v16, v15
	v_add_f16_sdwa v38, v38, v16 dst_sel:DWORD dst_unused:UNUSED_PAD src0_sel:DWORD src1_sel:WORD_1
	v_fma_f16 v36, v39, -0.5, v36
	v_pk_mul_f16 v17, v54, v43
	v_add_f16_e32 v38, v38, v13
	v_fma_f16 v39, v11, s4, v36
	v_sub_f16_sdwa v16, v16, v16 dst_sel:DWORD dst_unused:UNUSED_PAD src0_sel:WORD_1 src1_sel:DWORD
	v_sub_f16_e32 v13, v13, v15
	v_fma_f16 v11, v11, s11, v36
	v_pk_fma_f16 v17, v53, v44, v17 neg_lo:[0,0,1] neg_hi:[0,0,1]
	v_fma_f16 v39, v9, s12, v39
	v_add_f16_e32 v13, v16, v13
	v_fma_f16 v9, v9, s5, v11
	v_sub_f16_sdwa v47, v47, v47 dst_sel:DWORD dst_unused:UNUSED_PAD src0_sel:DWORD src1_sel:WORD_1
	v_add_f16_e32 v38, v38, v15
	v_fma_f16 v15, v13, s10, v39
	v_fma_f16 v9, v13, s10, v9
	v_add_f16_sdwa v13, v17, v27 dst_sel:DWORD dst_unused:UNUSED_PAD src0_sel:WORD_1 src1_sel:DWORD
	v_fma_f16 v14, v45, v14, v58
	v_fma_f16 v13, v13, -0.5, v47
	v_sub_f16_e32 v16, v10, v25
	v_fma_f16 v36, v16, s4, v13
	v_sub_f16_e32 v39, v12, v14
	v_sub_f16_sdwa v40, v17, v17 dst_sel:DWORD dst_unused:UNUSED_PAD src0_sel:DWORD src1_sel:WORD_1
	v_sub_f16_e32 v41, v29, v27
	v_fma_f16 v13, v16, s11, v13
	v_fma_f16 v36, v39, s5, v36
	v_add_f16_e32 v40, v40, v41
	v_fma_f16 v13, v39, s12, v13
	v_add_f16_e32 v11, v47, v17
	v_fma_f16 v36, v40, s10, v36
	v_fma_f16 v13, v40, s10, v13
	v_add_f16_e32 v40, v17, v29
	v_add_f16_sdwa v11, v11, v17 dst_sel:DWORD dst_unused:UNUSED_PAD src0_sel:DWORD src1_sel:WORD_1
	v_fma_f16 v40, v40, -0.5, v47
	v_add_f16_e32 v11, v11, v27
	v_fma_f16 v41, v39, s11, v40
	v_sub_f16_sdwa v42, v17, v17 dst_sel:DWORD dst_unused:UNUSED_PAD src0_sel:WORD_1 src1_sel:DWORD
	v_sub_f16_e32 v43, v27, v29
	v_fma_f16 v39, v39, s4, v40
	v_add_f16_e32 v40, v12, v14
	v_add_f16_e32 v11, v11, v29
	v_fma_f16 v41, v16, s5, v41
	v_add_f16_e32 v42, v42, v43
	v_fma_f16 v16, v16, s12, v39
	v_fma_f16 v40, v40, -0.5, v8
	v_sub_f16_e32 v29, v17, v29
	v_fma_f16 v41, v42, s10, v41
	v_fma_f16 v16, v42, s10, v16
	v_fma_f16 v42, v29, s11, v40
	v_sub_f16_sdwa v17, v17, v27 dst_sel:DWORD dst_unused:UNUSED_PAD src0_sel:WORD_1 src1_sel:DWORD
	v_fma_f16 v27, v17, s12, v42
	v_sub_f16_e32 v42, v10, v12
	v_sub_f16_e32 v43, v25, v14
	v_fma_f16 v40, v29, s4, v40
	v_add_f16_e32 v42, v42, v43
	v_fma_f16 v40, v17, s5, v40
	v_fma_f16 v27, v42, s10, v27
	;; [unrolled: 1-line block ×3, first 2 shown]
	v_add_f16_e32 v42, v10, v25
	v_add_f16_e32 v39, v8, v10
	v_fma_f16 v8, v42, -0.5, v8
	v_add_f16_e32 v39, v39, v12
	v_fma_f16 v42, v17, s4, v8
	v_sub_f16_e32 v10, v12, v10
	v_sub_f16_e32 v12, v14, v25
	v_fma_f16 v42, v29, s12, v42
	v_add_f16_e32 v10, v10, v12
	v_fma_f16 v8, v17, s11, v8
	v_add_f16_e32 v39, v39, v14
	v_fma_f16 v12, v10, s10, v42
	v_fma_f16 v8, v29, s5, v8
	v_mul_f16_e32 v44, 0x3a79, v13
	v_add_f16_e32 v39, v39, v25
	v_fma_f16 v8, v10, s10, v8
	v_mul_f16_e32 v14, 0x38b4, v27
	s_movk_i32 s0, 0x3a79
	v_mul_f16_e32 v25, 0x3b9c, v12
	v_mul_f16_e32 v42, 0x34f2, v16
	v_fma_f16 v44, v40, s5, -v44
	v_mul_f16_e32 v40, 0x3a79, v40
	v_fma_f16 v14, v36, s0, v14
	v_fma_f16 v25, v41, s10, v25
	v_fma_f16 v42, v8, s4, -v42
	v_mul_f16_e32 v36, 0xb8b4, v36
	v_mul_f16_e32 v8, 0x34f2, v8
	v_fma_f16 v13, v13, s12, -v40
	v_add_f16_e32 v10, v30, v11
	v_add_f16_e32 v29, v35, v25
	v_fma_f16 v27, v27, s0, v36
	v_mul_f16_e32 v41, 0xbb9c, v41
	v_fma_f16 v8, v16, s11, -v8
	v_add_f16_e32 v40, v28, v13
	v_sub_f16_e32 v11, v30, v11
	v_sub_f16_e32 v30, v35, v25
	;; [unrolled: 1-line block ×3, first 2 shown]
	s_movk_i32 s0, 0x1b8
	v_mov_b32_e32 v13, 2
	v_add_f16_e32 v17, v37, v14
	v_add_f16_e32 v46, v38, v39
	;; [unrolled: 1-line block ×3, first 2 shown]
	v_fma_f16 v12, v12, s10, v41
	v_add_f16_e32 v16, v9, v8
	v_sub_f16_e32 v8, v9, v8
	v_mad_u32_u24 v9, v32, s0, 0
	v_lshlrev_b32_sdwa v13, v13, v33 dst_sel:DWORD dst_unused:UNUSED_PAD src0_sel:DWORD src1_sel:BYTE_0
	v_add_f16_e32 v43, v0, v42
	v_add_f16_e32 v41, v15, v12
	v_add3_u32 v9, v9, v13, v24
	v_pack_b32_f16 v10, v10, v46
	v_pack_b32_f16 v13, v17, v36
	v_add_f16_e32 v45, v31, v44
	v_sub_f16_e32 v35, v0, v42
	v_sub_f16_e32 v0, v31, v44
	;; [unrolled: 1-line block ×3, first 2 shown]
	ds_write2_b32 v9, v10, v13 offset1:11
	v_pack_b32_f16 v10, v29, v41
	v_pack_b32_f16 v13, v43, v16
	v_sub_f16_e32 v14, v37, v14
	v_sub_f16_e32 v26, v26, v27
	;; [unrolled: 1-line block ×3, first 2 shown]
	ds_write2_b32 v9, v10, v13 offset0:22 offset1:33
	v_pack_b32_f16 v10, v45, v40
	v_pack_b32_f16 v11, v11, v31
	ds_write2_b32 v9, v10, v11 offset0:44 offset1:55
	v_pack_b32_f16 v10, v14, v26
	v_pack_b32_f16 v11, v30, v12
	;; [unrolled: 3-line block ×3, first 2 shown]
	ds_write2_b32 v9, v8, v10 offset0:88 offset1:99
	s_waitcnt lgkmcnt(0)
	s_barrier
	ds_read_b32 v27, v19
	ds_read2_b32 v[14:15], v20 offset0:110 offset1:143
	ds_read2_b32 v[12:13], v20 offset0:176 offset1:220
	;; [unrolled: 1-line block ×4, first 2 shown]
	v_cmp_gt_u32_e64 s[0:1], 11, v6
                                        ; implicit-def: $vgpr24
                                        ; implicit-def: $vgpr26
	s_and_saveexec_b64 s[4:5], s[0:1]
	s_cbranch_execz .LBB0_16
; %bb.15:
	ds_read2_b32 v[0:1], v20 offset0:99 offset1:209
	ds_read_b32 v26, v20 offset:1276
	s_waitcnt lgkmcnt(1)
	v_lshrrev_b32_e32 v25, 16, v0
	s_waitcnt lgkmcnt(0)
	v_lshrrev_b32_e32 v24, 16, v26
	v_lshrrev_b32_e32 v22, 16, v1
.LBB0_16:
	s_or_b64 exec, exec, s[4:5]
	v_lshlrev_b32_e32 v10, 1, v6
	v_mov_b32_e32 v11, 0
	v_lshl_add_u64 v[28:29], v[10:11], 2, s[8:9]
	v_add_u32_e32 v30, 0x42, v10
	v_mov_b32_e32 v31, v11
	v_add_u32_e32 v10, 0x84, v10
	global_load_dwordx2 v[28:29], v[28:29], off offset:396
	v_lshl_add_u64 v[30:31], v[30:31], 2, s[8:9]
	global_load_dwordx2 v[30:31], v[30:31], off offset:396
	v_lshl_add_u64 v[32:33], v[10:11], 2, s[8:9]
	global_load_dwordx2 v[32:33], v[32:33], off offset:396
	s_waitcnt lgkmcnt(2)
	v_lshrrev_b32_e32 v39, 16, v13
	v_lshrrev_b32_e32 v40, 16, v14
	;; [unrolled: 1-line block ×3, first 2 shown]
	s_waitcnt lgkmcnt(0)
	v_lshrrev_b32_e32 v37, 16, v16
	v_lshrrev_b32_e32 v38, 16, v15
	v_lshl_add_u32 v10, v21, 2, v23
	v_lshrrev_b32_e32 v21, 16, v27
	v_lshrrev_b32_e32 v35, 16, v17
	;; [unrolled: 1-line block ×3, first 2 shown]
	s_movk_i32 s10, 0x3aee
	s_mov_b32 s11, 0xbaee
	v_lshrrev_b32_e32 v34, 16, v9
	s_barrier
	s_waitcnt vmcnt(2)
	v_mul_f16_sdwa v41, v28, v40 dst_sel:DWORD dst_unused:UNUSED_PAD src0_sel:WORD_1 src1_sel:DWORD
	v_mul_f16_sdwa v42, v28, v14 dst_sel:DWORD dst_unused:UNUSED_PAD src0_sel:WORD_1 src1_sel:DWORD
	;; [unrolled: 1-line block ×4, first 2 shown]
	v_fma_f16 v14, v28, v14, -v41
	v_fma_f16 v28, v28, v40, v42
	v_fma_f16 v13, v29, v13, -v43
	v_fma_f16 v29, v29, v39, v44
	s_waitcnt vmcnt(1)
	v_mul_f16_sdwa v39, v30, v38 dst_sel:DWORD dst_unused:UNUSED_PAD src0_sel:WORD_1 src1_sel:DWORD
	v_mul_f16_sdwa v40, v30, v15 dst_sel:DWORD dst_unused:UNUSED_PAD src0_sel:WORD_1 src1_sel:DWORD
	;; [unrolled: 1-line block ×4, first 2 shown]
	s_waitcnt vmcnt(0)
	v_mul_f16_sdwa v43, v32, v36 dst_sel:DWORD dst_unused:UNUSED_PAD src0_sel:WORD_1 src1_sel:DWORD
	v_mul_f16_sdwa v44, v32, v12 dst_sel:DWORD dst_unused:UNUSED_PAD src0_sel:WORD_1 src1_sel:DWORD
	;; [unrolled: 1-line block ×4, first 2 shown]
	v_fma_f16 v15, v30, v15, -v39
	v_fma_f16 v30, v30, v38, v40
	v_fma_f16 v16, v31, v16, -v41
	v_fma_f16 v31, v31, v37, v42
	;; [unrolled: 2-line block ×3, first 2 shown]
	v_add_f16_e32 v36, v14, v13
	v_sub_f16_e32 v37, v28, v29
	v_add_f16_e32 v38, v21, v28
	v_add_f16_e32 v28, v28, v29
	v_fma_f16 v17, v33, v17, -v45
	v_fma_f16 v33, v33, v35, v46
	v_add_f16_e32 v35, v27, v14
	v_sub_f16_e32 v14, v14, v13
	v_fma_f16 v27, v36, -0.5, v27
	v_fma_f16 v21, v28, -0.5, v21
	v_add_f16_e32 v29, v38, v29
	v_add_f16_e32 v28, v8, v15
	;; [unrolled: 1-line block ×3, first 2 shown]
	v_fma_f16 v43, v37, s10, v27
	v_fma_f16 v27, v37, s11, v27
	;; [unrolled: 1-line block ×4, first 2 shown]
	v_add_f16_e32 v13, v35, v13
	v_add_f16_e32 v35, v15, v16
	v_sub_f16_e32 v36, v30, v31
	v_add_f16_e32 v30, v30, v31
	v_sub_f16_e32 v15, v15, v16
	v_add_f16_e32 v39, v9, v12
	v_add_f16_e32 v40, v12, v17
	v_sub_f16_e32 v41, v32, v33
	v_add_f16_e32 v42, v34, v32
	v_add_f16_e32 v32, v32, v33
	;; [unrolled: 1-line block ×4, first 2 shown]
	v_pack_b32_f16 v14, v27, v14
	v_sub_f16_e32 v12, v12, v17
	v_fma_f16 v8, v35, -0.5, v8
	v_fma_f16 v23, v30, -0.5, v23
	v_add_f16_e32 v17, v39, v17
	v_fma_f16 v9, v40, -0.5, v9
	v_add_f16_e32 v28, v42, v33
	v_fma_f16 v30, v32, -0.5, v34
	v_pack_b32_f16 v13, v13, v29
	ds_write_b32 v20, v14 offset:880
	v_pack_b32_f16 v14, v16, v21
	v_fma_f16 v31, v36, s10, v8
	v_fma_f16 v32, v15, s11, v23
	;; [unrolled: 1-line block ×5, first 2 shown]
	v_pack_b32_f16 v29, v43, v37
	ds_write2_b32 v20, v13, v14 offset1:33
	v_pack_b32_f16 v14, v17, v28
	v_fma_f16 v8, v36, s11, v8
	v_fma_f16 v9, v41, s11, v9
	;; [unrolled: 1-line block ×3, first 2 shown]
	v_pack_b32_f16 v13, v31, v32
	ds_write2_b32 v20, v14, v29 offset0:66 offset1:110
	v_pack_b32_f16 v14, v23, v33
	v_pack_b32_f16 v8, v8, v15
	ds_write2_b32 v10, v13, v14 offset0:143 offset1:176
	v_pack_b32_f16 v9, v9, v12
	v_add_u32_e32 v10, 0x200, v10
	ds_write2_b32 v10, v8, v9 offset0:125 offset1:158
	s_and_saveexec_b64 s[4:5], s[0:1]
	s_cbranch_execz .LBB0_18
; %bb.17:
	v_mov_b32_e32 v8, 0x63
	v_cndmask_b32_e64 v8, -11, v8, s[0:1]
	v_add_lshl_u32 v10, v6, v8, 1
	v_lshl_add_u64 v[8:9], v[10:11], 2, s[8:9]
	global_load_dwordx2 v[8:9], v[8:9], off offset:396
	s_waitcnt vmcnt(0)
	v_mul_f16_sdwa v10, v22, v8 dst_sel:DWORD dst_unused:UNUSED_PAD src0_sel:DWORD src1_sel:WORD_1
	v_mul_f16_sdwa v11, v24, v9 dst_sel:DWORD dst_unused:UNUSED_PAD src0_sel:DWORD src1_sel:WORD_1
	;; [unrolled: 1-line block ×4, first 2 shown]
	v_fma_f16 v1, v1, v8, -v10
	v_fma_f16 v10, v26, v9, -v11
	v_fma_f16 v8, v22, v8, v12
	v_fma_f16 v9, v24, v9, v13
	v_add_f16_e32 v12, v8, v9
	v_add_f16_e32 v14, v1, v10
	v_sub_f16_e32 v11, v1, v10
	v_add_f16_e32 v13, v25, v8
	v_sub_f16_e32 v8, v8, v9
	v_add_f16_e32 v1, v0, v1
	v_fma_f16 v12, v12, -0.5, v25
	v_fma_f16 v0, v14, -0.5, v0
	v_add_f16_e32 v9, v13, v9
	v_add_f16_e32 v1, v1, v10
	v_fma_f16 v10, v11, s10, v12
	v_fma_f16 v11, v11, s11, v12
	;; [unrolled: 1-line block ×4, first 2 shown]
	v_pack_b32_f16 v1, v1, v9
	v_pack_b32_f16 v0, v0, v11
	;; [unrolled: 1-line block ×3, first 2 shown]
	ds_write2_b32 v20, v1, v0 offset0:99 offset1:209
	ds_write_b32 v20, v8 offset:1276
.LBB0_18:
	s_or_b64 exec, exec, s[4:5]
	s_waitcnt lgkmcnt(0)
	s_barrier
	ds_read_b32 v12, v19
	v_sub_u32_e32 v8, v18, v7
	v_cmp_ne_u32_e64 s[0:1], 0, v6
                                        ; implicit-def: $vgpr10
                                        ; implicit-def: $vgpr9
                                        ; implicit-def: $vgpr11
                                        ; implicit-def: $vgpr0_vgpr1
	s_and_saveexec_b64 s[4:5], s[0:1]
	s_xor_b64 s[0:1], exec, s[4:5]
	s_cbranch_execz .LBB0_20
; %bb.19:
	v_mov_b32_e32 v7, 0
	v_lshl_add_u64 v[0:1], v[6:7], 2, s[8:9]
	global_load_dword v0, v[0:1], off offset:1276
	ds_read_b32 v1, v8 offset:1320
	s_mov_b32 s4, 0xffff
	s_waitcnt lgkmcnt(0)
	v_pk_add_f16 v9, v12, v1 neg_lo:[0,1] neg_hi:[0,1]
	v_pk_add_f16 v1, v1, v12
	s_nop 0
	v_bfi_b32 v10, s4, v9, v1
	v_bfi_b32 v1, s4, v1, v9
	v_pk_mul_f16 v9, v10, 0.5 op_sel_hi:[1,0]
	v_pk_mul_f16 v10, v1, 0.5 op_sel_hi:[1,0]
	s_waitcnt vmcnt(0)
	v_pk_mul_f16 v11, v0, v9 op_sel:[1,0]
	v_pk_mul_f16 v0, v0, v9 op_sel_hi:[0,1]
	v_pk_fma_f16 v1, v1, 0.5, v11 op_sel_hi:[1,0,1]
	v_sub_f16_e32 v9, v10, v11
	v_sub_f16_sdwa v10, v11, v10 dst_sel:DWORD dst_unused:UNUSED_PAD src0_sel:WORD_1 src1_sel:WORD_1
	v_pk_add_f16 v12, v1, v0 op_sel:[0,1] op_sel_hi:[1,0]
	v_pk_add_f16 v1, v1, v0 op_sel:[0,1] op_sel_hi:[1,0] neg_lo:[0,1] neg_hi:[0,1]
	v_sub_f16_sdwa v9, v9, v0 dst_sel:DWORD dst_unused:UNUSED_PAD src0_sel:DWORD src1_sel:WORD_1
	v_sub_f16_e32 v11, v10, v0
	v_bfi_b32 v10, s4, v12, v1
	v_mov_b64_e32 v[0:1], v[6:7]
                                        ; implicit-def: $vgpr12
.LBB0_20:
	s_andn2_saveexec_b64 s[0:1], s[0:1]
	s_cbranch_execz .LBB0_22
; %bb.21:
	ds_read_u16 v0, v18 offset:662
	s_waitcnt lgkmcnt(1)
	v_alignbit_b32 v1, s0, v12, 16
	v_pk_add_f16 v1, v1, v12
	v_sub_f16_sdwa v9, v12, v12 dst_sel:DWORD dst_unused:UNUSED_PAD src0_sel:DWORD src1_sel:WORD_1
	v_pack_b32_f16 v10, v1, 0
	s_waitcnt lgkmcnt(0)
	v_xor_b32_e32 v0, 0x8000, v0
	ds_write_b16 v18, v0 offset:662
	v_mov_b64_e32 v[0:1], 0
	v_mov_b32_e32 v11, 0
.LBB0_22:
	s_or_b64 exec, exec, s[0:1]
	s_add_u32 s0, s8, 0x4fc
	s_addc_u32 s1, s9, 0
	v_lshl_add_u64 v[0:1], v[0:1], 2, s[0:1]
	global_load_dword v7, v[0:1], off offset:132
	s_waitcnt lgkmcnt(0)
	global_load_dword v12, v[0:1], off offset:264
	global_load_dword v13, v[0:1], off offset:396
	ds_write_b16 v8, v11 offset:1322
	ds_write_b32 v19, v10
	ds_write_b16 v8, v9 offset:1320
	ds_read_b32 v9, v19 offset:132
	ds_read_b32 v10, v8 offset:1188
	global_load_dword v0, v[0:1], off offset:528
	s_mov_b32 s0, 0xffff
	s_waitcnt lgkmcnt(0)
	v_pk_add_f16 v1, v9, v10 neg_lo:[0,1] neg_hi:[0,1]
	v_pk_add_f16 v9, v9, v10
	s_nop 0
	v_bfi_b32 v10, s0, v1, v9
	v_bfi_b32 v1, s0, v9, v1
	v_pk_mul_f16 v9, v10, 0.5 op_sel_hi:[1,0]
	v_pk_mul_f16 v1, v1, 0.5 op_sel_hi:[1,0]
	s_waitcnt vmcnt(3)
	v_pk_mul_f16 v11, v7, v9 op_sel_hi:[0,1]
	v_pk_fma_f16 v10, v7, v9, v1 op_sel:[1,0,0]
	v_pk_fma_f16 v14, v7, v9, v1 op_sel:[1,0,0] neg_lo:[1,0,0] neg_hi:[1,0,0]
	v_pk_fma_f16 v1, v7, v9, v1 op_sel:[1,0,0] neg_lo:[0,0,1] neg_hi:[0,0,1]
	v_pk_add_f16 v7, v10, v11 op_sel:[0,1] op_sel_hi:[1,0]
	v_pk_add_f16 v9, v10, v11 op_sel:[0,1] op_sel_hi:[1,0] neg_lo:[0,1] neg_hi:[0,1]
	v_pk_add_f16 v10, v14, v11 op_sel:[0,1] op_sel_hi:[1,0] neg_lo:[0,1] neg_hi:[0,1]
	v_pk_add_f16 v1, v1, v11 op_sel:[0,1] op_sel_hi:[1,0] neg_lo:[0,1] neg_hi:[0,1]
	v_bfi_b32 v7, s0, v7, v9
	v_bfi_b32 v1, s0, v10, v1
	ds_write_b32 v19, v7 offset:132
	ds_write_b32 v8, v1 offset:1188
	ds_read_b32 v1, v19 offset:264
	ds_read_b32 v7, v8 offset:1056
	s_waitcnt lgkmcnt(0)
	v_pk_add_f16 v9, v1, v7 neg_lo:[0,1] neg_hi:[0,1]
	v_pk_add_f16 v1, v1, v7
	s_nop 0
	v_bfi_b32 v7, s0, v9, v1
	v_bfi_b32 v1, s0, v1, v9
	v_pk_mul_f16 v7, v7, 0.5 op_sel_hi:[1,0]
	v_pk_mul_f16 v1, v1, 0.5 op_sel_hi:[1,0]
	s_waitcnt vmcnt(2)
	v_pk_mul_f16 v10, v12, v7 op_sel_hi:[0,1]
	v_pk_fma_f16 v9, v12, v7, v1 op_sel:[1,0,0]
	v_pk_fma_f16 v11, v12, v7, v1 op_sel:[1,0,0] neg_lo:[1,0,0] neg_hi:[1,0,0]
	v_pk_fma_f16 v1, v12, v7, v1 op_sel:[1,0,0] neg_lo:[0,0,1] neg_hi:[0,0,1]
	v_pk_add_f16 v7, v9, v10 op_sel:[0,1] op_sel_hi:[1,0]
	v_pk_add_f16 v9, v9, v10 op_sel:[0,1] op_sel_hi:[1,0] neg_lo:[0,1] neg_hi:[0,1]
	v_pk_add_f16 v11, v11, v10 op_sel:[0,1] op_sel_hi:[1,0] neg_lo:[0,1] neg_hi:[0,1]
	v_pk_add_f16 v1, v1, v10 op_sel:[0,1] op_sel_hi:[1,0] neg_lo:[0,1] neg_hi:[0,1]
	v_bfi_b32 v7, s0, v7, v9
	v_bfi_b32 v1, s0, v11, v1
	ds_write_b32 v19, v7 offset:264
	ds_write_b32 v8, v1 offset:1056
	ds_read_b32 v1, v19 offset:396
	ds_read_b32 v7, v8 offset:924
	;; [unrolled: 23-line block ×3, first 2 shown]
	s_waitcnt lgkmcnt(0)
	v_pk_add_f16 v9, v1, v7 neg_lo:[0,1] neg_hi:[0,1]
	v_pk_add_f16 v1, v1, v7
	s_nop 0
	v_bfi_b32 v7, s0, v9, v1
	v_bfi_b32 v1, s0, v1, v9
	v_pk_mul_f16 v7, v7, 0.5 op_sel_hi:[1,0]
	v_pk_mul_f16 v1, v1, 0.5 op_sel_hi:[1,0]
	s_waitcnt vmcnt(0)
	v_pk_mul_f16 v10, v0, v7 op_sel_hi:[0,1]
	v_pk_fma_f16 v9, v0, v7, v1 op_sel:[1,0,0]
	v_pk_fma_f16 v11, v0, v7, v1 op_sel:[1,0,0] neg_lo:[1,0,0] neg_hi:[1,0,0]
	v_pk_fma_f16 v0, v0, v7, v1 op_sel:[1,0,0] neg_lo:[0,0,1] neg_hi:[0,0,1]
	v_pk_add_f16 v1, v9, v10 op_sel:[0,1] op_sel_hi:[1,0]
	v_pk_add_f16 v7, v9, v10 op_sel:[0,1] op_sel_hi:[1,0] neg_lo:[0,1] neg_hi:[0,1]
	v_pk_add_f16 v9, v11, v10 op_sel:[0,1] op_sel_hi:[1,0] neg_lo:[0,1] neg_hi:[0,1]
	;; [unrolled: 1-line block ×3, first 2 shown]
	v_bfi_b32 v1, s0, v1, v7
	v_bfi_b32 v0, s0, v9, v0
	ds_write_b32 v19, v1 offset:528
	ds_write_b32 v8, v0 offset:792
	s_waitcnt lgkmcnt(0)
	s_barrier
	s_and_saveexec_b64 s[0:1], vcc
	s_cbranch_execz .LBB0_25
; %bb.23:
	v_mul_lo_u32 v7, s3, v4
	v_mad_u64_u32 v[0:1], s[0:1], s2, v4, 0
	v_lshl_add_u32 v4, v6, 2, v18
	v_mul_lo_u32 v5, s2, v5
	ds_read2_b32 v[8:9], v4 offset1:33
	v_add3_u32 v1, v1, v5, v7
	v_lshl_add_u64 v[0:1], v[0:1], 2, s[6:7]
	v_mov_b32_e32 v7, 0
	v_lshl_add_u64 v[0:1], v[2:3], 2, v[0:1]
	v_lshl_add_u64 v[2:3], v[6:7], 2, v[0:1]
	ds_read2_b32 v[10:11], v4 offset0:66 offset1:99
	s_waitcnt lgkmcnt(1)
	global_store_dword v[2:3], v8, off
	v_add_u32_e32 v2, 33, v6
	v_mov_b32_e32 v3, v7
	v_lshl_add_u64 v[2:3], v[2:3], 2, v[0:1]
	global_store_dword v[2:3], v9, off
	v_add_u32_e32 v2, 0x42, v6
	v_mov_b32_e32 v3, v7
	v_lshl_add_u64 v[2:3], v[2:3], 2, v[0:1]
	ds_read2_b32 v[8:9], v4 offset0:132 offset1:165
	s_waitcnt lgkmcnt(1)
	global_store_dword v[2:3], v10, off
	v_add_u32_e32 v2, 0x63, v6
	v_mov_b32_e32 v3, v7
	v_lshl_add_u64 v[2:3], v[2:3], 2, v[0:1]
	global_store_dword v[2:3], v11, off
	v_add_u32_e32 v2, 0x84, v6
	v_mov_b32_e32 v3, v7
	;; [unrolled: 10-line block ×3, first 2 shown]
	v_add_u32_e32 v5, 0x400, v4
	v_lshl_add_u64 v[2:3], v[2:3], 2, v[0:1]
	ds_read2_b32 v[8:9], v5 offset0:8 offset1:41
	s_waitcnt lgkmcnt(1)
	global_store_dword v[2:3], v10, off
	v_add_u32_e32 v2, 0xe7, v6
	v_mov_b32_e32 v3, v7
	v_lshl_add_u64 v[2:3], v[2:3], 2, v[0:1]
	global_store_dword v[2:3], v11, off
	v_add_u32_e32 v2, 0x108, v6
	v_mov_b32_e32 v3, v7
	v_lshl_add_u64 v[2:3], v[2:3], 2, v[0:1]
	s_waitcnt lgkmcnt(0)
	global_store_dword v[2:3], v8, off
	v_add_u32_e32 v2, 0x129, v6
	v_mov_b32_e32 v3, v7
	v_lshl_add_u64 v[2:3], v[2:3], 2, v[0:1]
	v_cmp_eq_u32_e32 vcc, 32, v6
	global_store_dword v[2:3], v9, off
	s_and_b64 exec, exec, vcc
	s_cbranch_execz .LBB0_25
; %bb.24:
	ds_read_b32 v2, v4 offset:1192
	s_waitcnt lgkmcnt(0)
	global_store_dword v[0:1], v2, off offset:1320
.LBB0_25:
	s_endpgm
	.section	.rodata,"a",@progbits
	.p2align	6, 0x0
	.amdhsa_kernel fft_rtc_fwd_len330_factors_11_10_3_wgs_99_tpt_33_half_op_CI_CI_unitstride_sbrr_R2C_dirReg
		.amdhsa_group_segment_fixed_size 0
		.amdhsa_private_segment_fixed_size 0
		.amdhsa_kernarg_size 104
		.amdhsa_user_sgpr_count 2
		.amdhsa_user_sgpr_dispatch_ptr 0
		.amdhsa_user_sgpr_queue_ptr 0
		.amdhsa_user_sgpr_kernarg_segment_ptr 1
		.amdhsa_user_sgpr_dispatch_id 0
		.amdhsa_user_sgpr_kernarg_preload_length 0
		.amdhsa_user_sgpr_kernarg_preload_offset 0
		.amdhsa_user_sgpr_private_segment_size 0
		.amdhsa_uses_dynamic_stack 0
		.amdhsa_enable_private_segment 0
		.amdhsa_system_sgpr_workgroup_id_x 1
		.amdhsa_system_sgpr_workgroup_id_y 0
		.amdhsa_system_sgpr_workgroup_id_z 0
		.amdhsa_system_sgpr_workgroup_info 0
		.amdhsa_system_vgpr_workitem_id 0
		.amdhsa_next_free_vgpr 86
		.amdhsa_next_free_sgpr 28
		.amdhsa_accum_offset 88
		.amdhsa_reserve_vcc 1
		.amdhsa_float_round_mode_32 0
		.amdhsa_float_round_mode_16_64 0
		.amdhsa_float_denorm_mode_32 3
		.amdhsa_float_denorm_mode_16_64 3
		.amdhsa_dx10_clamp 1
		.amdhsa_ieee_mode 1
		.amdhsa_fp16_overflow 0
		.amdhsa_tg_split 0
		.amdhsa_exception_fp_ieee_invalid_op 0
		.amdhsa_exception_fp_denorm_src 0
		.amdhsa_exception_fp_ieee_div_zero 0
		.amdhsa_exception_fp_ieee_overflow 0
		.amdhsa_exception_fp_ieee_underflow 0
		.amdhsa_exception_fp_ieee_inexact 0
		.amdhsa_exception_int_div_zero 0
	.end_amdhsa_kernel
	.text
.Lfunc_end0:
	.size	fft_rtc_fwd_len330_factors_11_10_3_wgs_99_tpt_33_half_op_CI_CI_unitstride_sbrr_R2C_dirReg, .Lfunc_end0-fft_rtc_fwd_len330_factors_11_10_3_wgs_99_tpt_33_half_op_CI_CI_unitstride_sbrr_R2C_dirReg
                                        ; -- End function
	.section	.AMDGPU.csdata,"",@progbits
; Kernel info:
; codeLenInByte = 8004
; NumSgprs: 34
; NumVgprs: 86
; NumAgprs: 0
; TotalNumVgprs: 86
; ScratchSize: 0
; MemoryBound: 0
; FloatMode: 240
; IeeeMode: 1
; LDSByteSize: 0 bytes/workgroup (compile time only)
; SGPRBlocks: 4
; VGPRBlocks: 10
; NumSGPRsForWavesPerEU: 34
; NumVGPRsForWavesPerEU: 86
; AccumOffset: 88
; Occupancy: 5
; WaveLimiterHint : 1
; COMPUTE_PGM_RSRC2:SCRATCH_EN: 0
; COMPUTE_PGM_RSRC2:USER_SGPR: 2
; COMPUTE_PGM_RSRC2:TRAP_HANDLER: 0
; COMPUTE_PGM_RSRC2:TGID_X_EN: 1
; COMPUTE_PGM_RSRC2:TGID_Y_EN: 0
; COMPUTE_PGM_RSRC2:TGID_Z_EN: 0
; COMPUTE_PGM_RSRC2:TIDIG_COMP_CNT: 0
; COMPUTE_PGM_RSRC3_GFX90A:ACCUM_OFFSET: 21
; COMPUTE_PGM_RSRC3_GFX90A:TG_SPLIT: 0
	.text
	.p2alignl 6, 3212836864
	.fill 256, 4, 3212836864
	.type	__hip_cuid_2e1c82ad31a568e4,@object ; @__hip_cuid_2e1c82ad31a568e4
	.section	.bss,"aw",@nobits
	.globl	__hip_cuid_2e1c82ad31a568e4
__hip_cuid_2e1c82ad31a568e4:
	.byte	0                               ; 0x0
	.size	__hip_cuid_2e1c82ad31a568e4, 1

	.ident	"AMD clang version 19.0.0git (https://github.com/RadeonOpenCompute/llvm-project roc-6.4.0 25133 c7fe45cf4b819c5991fe208aaa96edf142730f1d)"
	.section	".note.GNU-stack","",@progbits
	.addrsig
	.addrsig_sym __hip_cuid_2e1c82ad31a568e4
	.amdgpu_metadata
---
amdhsa.kernels:
  - .agpr_count:     0
    .args:
      - .actual_access:  read_only
        .address_space:  global
        .offset:         0
        .size:           8
        .value_kind:     global_buffer
      - .offset:         8
        .size:           8
        .value_kind:     by_value
      - .actual_access:  read_only
        .address_space:  global
        .offset:         16
        .size:           8
        .value_kind:     global_buffer
      - .actual_access:  read_only
        .address_space:  global
        .offset:         24
        .size:           8
        .value_kind:     global_buffer
      - .actual_access:  read_only
        .address_space:  global
        .offset:         32
        .size:           8
        .value_kind:     global_buffer
      - .offset:         40
        .size:           8
        .value_kind:     by_value
      - .actual_access:  read_only
        .address_space:  global
        .offset:         48
        .size:           8
        .value_kind:     global_buffer
      - .actual_access:  read_only
        .address_space:  global
        .offset:         56
        .size:           8
        .value_kind:     global_buffer
      - .offset:         64
        .size:           4
        .value_kind:     by_value
      - .actual_access:  read_only
        .address_space:  global
        .offset:         72
        .size:           8
        .value_kind:     global_buffer
      - .actual_access:  read_only
        .address_space:  global
        .offset:         80
        .size:           8
        .value_kind:     global_buffer
      - .actual_access:  read_only
        .address_space:  global
        .offset:         88
        .size:           8
        .value_kind:     global_buffer
      - .actual_access:  write_only
        .address_space:  global
        .offset:         96
        .size:           8
        .value_kind:     global_buffer
    .group_segment_fixed_size: 0
    .kernarg_segment_align: 8
    .kernarg_segment_size: 104
    .language:       OpenCL C
    .language_version:
      - 2
      - 0
    .max_flat_workgroup_size: 99
    .name:           fft_rtc_fwd_len330_factors_11_10_3_wgs_99_tpt_33_half_op_CI_CI_unitstride_sbrr_R2C_dirReg
    .private_segment_fixed_size: 0
    .sgpr_count:     34
    .sgpr_spill_count: 0
    .symbol:         fft_rtc_fwd_len330_factors_11_10_3_wgs_99_tpt_33_half_op_CI_CI_unitstride_sbrr_R2C_dirReg.kd
    .uniform_work_group_size: 1
    .uses_dynamic_stack: false
    .vgpr_count:     86
    .vgpr_spill_count: 0
    .wavefront_size: 64
amdhsa.target:   amdgcn-amd-amdhsa--gfx950
amdhsa.version:
  - 1
  - 2
...

	.end_amdgpu_metadata
